;; amdgpu-corpus repo=ROCm/vllm kind=compiled arch=gfx906 opt=O3
	.amdgcn_target "amdgcn-amd-amdhsa--gfx906"
	.amdhsa_code_object_version 6
	.section	.text._ZN4vllm33apply_repetition_penalties_kernelIfEEvPT_PKbS4_PKS1_iii,"axG",@progbits,_ZN4vllm33apply_repetition_penalties_kernelIfEEvPT_PKbS4_PKS1_iii,comdat
	.protected	_ZN4vllm33apply_repetition_penalties_kernelIfEEvPT_PKbS4_PKS1_iii ; -- Begin function _ZN4vllm33apply_repetition_penalties_kernelIfEEvPT_PKbS4_PKS1_iii
	.globl	_ZN4vllm33apply_repetition_penalties_kernelIfEEvPT_PKbS4_PKS1_iii
	.p2align	8
	.type	_ZN4vllm33apply_repetition_penalties_kernelIfEEvPT_PKbS4_PKS1_iii,@function
_ZN4vllm33apply_repetition_penalties_kernelIfEEvPT_PKbS4_PKS1_iii: ; @_ZN4vllm33apply_repetition_penalties_kernelIfEEvPT_PKbS4_PKS1_iii
; %bb.0:
	s_load_dwordx4 s[0:3], s[4:5], 0x20
	s_waitcnt lgkmcnt(0)
	s_cmp_ge_i32 s6, s0
	s_cbranch_scc1 .LBB0_12
; %bb.1:
	s_mul_i32 s0, s2, s7
	s_add_i32 s2, s0, s2
	s_min_i32 s16, s2, s1
	v_add_u32_e32 v2, s0, v0
	v_cmp_gt_i32_e32 vcc, s16, v2
	s_and_saveexec_b64 s[2:3], vcc
	s_cbranch_execz .LBB0_12
; %bb.2:
	s_load_dwordx8 s[8:15], s[4:5], 0x0
	s_ashr_i32 s7, s6, 31
	s_lshl_b64 s[2:3], s[6:7], 2
	s_load_dword s0, s[4:5], 0x3c
	s_mul_hi_i32 s17, s1, s6
	s_waitcnt lgkmcnt(0)
	s_add_u32 s2, s14, s2
	s_addc_u32 s3, s15, s3
	s_load_dword s7, s[2:3], 0x0
	s_mul_i32 s6, s1, s6
	s_and_b32 s14, s0, 0xffff
	s_mov_b64 s[0:1], 0
	v_mov_b32_e32 v3, s17
	v_mov_b32_e32 v4, s11
	s_branch .LBB0_5
.LBB0_3:                                ;   in Loop: Header=BB0_5 Depth=1
	s_or_b64 exec, exec, s[4:5]
	global_store_dword v[0:1], v6, off
.LBB0_4:                                ;   in Loop: Header=BB0_5 Depth=1
	s_or_b64 exec, exec, s[2:3]
	v_add_u32_e32 v2, s14, v2
	v_cmp_le_i32_e32 vcc, s16, v2
	s_or_b64 s[0:1], vcc, s[0:1]
	s_andn2_b64 exec, exec, s[0:1]
	s_cbranch_execz .LBB0_12
.LBB0_5:                                ; =>This Inner Loop Header: Depth=1
	v_ashrrev_i32_e32 v1, 31, v2
	v_add_co_u32_e32 v0, vcc, s6, v2
	v_addc_co_u32_e32 v1, vcc, v3, v1, vcc
	v_add_co_u32_e32 v5, vcc, s10, v0
	v_addc_co_u32_e32 v6, vcc, v4, v1, vcc
	global_load_ubyte v5, v[5:6], off
	s_mov_b64 s[4:5], -1
	s_waitcnt vmcnt(0)
	v_and_b32_e32 v5, 1, v5
	v_cmp_eq_u32_e32 vcc, 1, v5
	s_xor_b64 s[18:19], vcc, -1
	s_and_saveexec_b64 s[2:3], s[18:19]
	s_cbranch_execz .LBB0_7
; %bb.6:                                ;   in Loop: Header=BB0_5 Depth=1
	v_mov_b32_e32 v6, s13
	v_add_co_u32_e32 v5, vcc, s12, v0
	v_addc_co_u32_e32 v6, vcc, v6, v1, vcc
	global_load_ubyte v5, v[5:6], off
	s_waitcnt vmcnt(0)
	v_and_b32_e32 v5, 1, v5
	v_cmp_eq_u32_e32 vcc, 1, v5
	s_orn2_b64 s[4:5], vcc, exec
.LBB0_7:                                ;   in Loop: Header=BB0_5 Depth=1
	s_or_b64 exec, exec, s[2:3]
	s_and_saveexec_b64 s[2:3], s[4:5]
	s_cbranch_execz .LBB0_4
; %bb.8:                                ;   in Loop: Header=BB0_5 Depth=1
	v_lshlrev_b64 v[0:1], 2, v[0:1]
	v_mov_b32_e32 v5, s9
	v_add_co_u32_e32 v0, vcc, s8, v0
	v_addc_co_u32_e32 v1, vcc, v5, v1, vcc
	global_load_dword v5, v[0:1], off
                                        ; implicit-def: $vgpr6
	s_waitcnt vmcnt(0)
	v_cmp_nlt_f32_e32 vcc, 0, v5
	s_and_saveexec_b64 s[4:5], vcc
	s_xor_b64 s[4:5], exec, s[4:5]
	s_cbranch_execz .LBB0_10
; %bb.9:                                ;   in Loop: Header=BB0_5 Depth=1
	s_waitcnt lgkmcnt(0)
	v_mul_f32_e32 v6, s7, v5
                                        ; implicit-def: $vgpr5
.LBB0_10:                               ;   in Loop: Header=BB0_5 Depth=1
	s_andn2_saveexec_b64 s[4:5], s[4:5]
	s_cbranch_execz .LBB0_3
; %bb.11:                               ;   in Loop: Header=BB0_5 Depth=1
	s_waitcnt lgkmcnt(0)
	v_div_scale_f32 v6, s[18:19], s7, s7, v5
	v_div_scale_f32 v7, vcc, v5, s7, v5
	v_rcp_f32_e32 v8, v6
	v_fma_f32 v9, -v6, v8, 1.0
	v_fmac_f32_e32 v8, v9, v8
	v_mul_f32_e32 v9, v7, v8
	v_fma_f32 v10, -v6, v9, v7
	v_fmac_f32_e32 v9, v10, v8
	v_fma_f32 v6, -v6, v9, v7
	v_div_fmas_f32 v6, v6, v8, v9
	v_div_fixup_f32 v6, v6, s7, v5
	s_branch .LBB0_3
.LBB0_12:
	s_endpgm
	.section	.rodata,"a",@progbits
	.p2align	6, 0x0
	.amdhsa_kernel _ZN4vllm33apply_repetition_penalties_kernelIfEEvPT_PKbS4_PKS1_iii
		.amdhsa_group_segment_fixed_size 0
		.amdhsa_private_segment_fixed_size 0
		.amdhsa_kernarg_size 304
		.amdhsa_user_sgpr_count 6
		.amdhsa_user_sgpr_private_segment_buffer 1
		.amdhsa_user_sgpr_dispatch_ptr 0
		.amdhsa_user_sgpr_queue_ptr 0
		.amdhsa_user_sgpr_kernarg_segment_ptr 1
		.amdhsa_user_sgpr_dispatch_id 0
		.amdhsa_user_sgpr_flat_scratch_init 0
		.amdhsa_user_sgpr_private_segment_size 0
		.amdhsa_uses_dynamic_stack 0
		.amdhsa_system_sgpr_private_segment_wavefront_offset 0
		.amdhsa_system_sgpr_workgroup_id_x 1
		.amdhsa_system_sgpr_workgroup_id_y 1
		.amdhsa_system_sgpr_workgroup_id_z 0
		.amdhsa_system_sgpr_workgroup_info 0
		.amdhsa_system_vgpr_workitem_id 0
		.amdhsa_next_free_vgpr 11
		.amdhsa_next_free_sgpr 20
		.amdhsa_reserve_vcc 1
		.amdhsa_reserve_flat_scratch 0
		.amdhsa_float_round_mode_32 0
		.amdhsa_float_round_mode_16_64 0
		.amdhsa_float_denorm_mode_32 3
		.amdhsa_float_denorm_mode_16_64 3
		.amdhsa_dx10_clamp 1
		.amdhsa_ieee_mode 1
		.amdhsa_fp16_overflow 0
		.amdhsa_exception_fp_ieee_invalid_op 0
		.amdhsa_exception_fp_denorm_src 0
		.amdhsa_exception_fp_ieee_div_zero 0
		.amdhsa_exception_fp_ieee_overflow 0
		.amdhsa_exception_fp_ieee_underflow 0
		.amdhsa_exception_fp_ieee_inexact 0
		.amdhsa_exception_int_div_zero 0
	.end_amdhsa_kernel
	.section	.text._ZN4vllm33apply_repetition_penalties_kernelIfEEvPT_PKbS4_PKS1_iii,"axG",@progbits,_ZN4vllm33apply_repetition_penalties_kernelIfEEvPT_PKbS4_PKS1_iii,comdat
.Lfunc_end0:
	.size	_ZN4vllm33apply_repetition_penalties_kernelIfEEvPT_PKbS4_PKS1_iii, .Lfunc_end0-_ZN4vllm33apply_repetition_penalties_kernelIfEEvPT_PKbS4_PKS1_iii
                                        ; -- End function
	.set _ZN4vllm33apply_repetition_penalties_kernelIfEEvPT_PKbS4_PKS1_iii.num_vgpr, 11
	.set _ZN4vllm33apply_repetition_penalties_kernelIfEEvPT_PKbS4_PKS1_iii.num_agpr, 0
	.set _ZN4vllm33apply_repetition_penalties_kernelIfEEvPT_PKbS4_PKS1_iii.numbered_sgpr, 20
	.set _ZN4vllm33apply_repetition_penalties_kernelIfEEvPT_PKbS4_PKS1_iii.num_named_barrier, 0
	.set _ZN4vllm33apply_repetition_penalties_kernelIfEEvPT_PKbS4_PKS1_iii.private_seg_size, 0
	.set _ZN4vllm33apply_repetition_penalties_kernelIfEEvPT_PKbS4_PKS1_iii.uses_vcc, 1
	.set _ZN4vllm33apply_repetition_penalties_kernelIfEEvPT_PKbS4_PKS1_iii.uses_flat_scratch, 0
	.set _ZN4vllm33apply_repetition_penalties_kernelIfEEvPT_PKbS4_PKS1_iii.has_dyn_sized_stack, 0
	.set _ZN4vllm33apply_repetition_penalties_kernelIfEEvPT_PKbS4_PKS1_iii.has_recursion, 0
	.set _ZN4vllm33apply_repetition_penalties_kernelIfEEvPT_PKbS4_PKS1_iii.has_indirect_call, 0
	.section	.AMDGPU.csdata,"",@progbits
; Kernel info:
; codeLenInByte = 412
; TotalNumSgprs: 24
; NumVgprs: 11
; ScratchSize: 0
; MemoryBound: 0
; FloatMode: 240
; IeeeMode: 1
; LDSByteSize: 0 bytes/workgroup (compile time only)
; SGPRBlocks: 2
; VGPRBlocks: 2
; NumSGPRsForWavesPerEU: 24
; NumVGPRsForWavesPerEU: 11
; Occupancy: 10
; WaveLimiterHint : 0
; COMPUTE_PGM_RSRC2:SCRATCH_EN: 0
; COMPUTE_PGM_RSRC2:USER_SGPR: 6
; COMPUTE_PGM_RSRC2:TRAP_HANDLER: 0
; COMPUTE_PGM_RSRC2:TGID_X_EN: 1
; COMPUTE_PGM_RSRC2:TGID_Y_EN: 1
; COMPUTE_PGM_RSRC2:TGID_Z_EN: 0
; COMPUTE_PGM_RSRC2:TIDIG_COMP_CNT: 0
	.section	.text._ZN4vllm33apply_repetition_penalties_kernelIN3c104HalfEEEvPT_PKbS6_PKS3_iii,"axG",@progbits,_ZN4vllm33apply_repetition_penalties_kernelIN3c104HalfEEEvPT_PKbS6_PKS3_iii,comdat
	.protected	_ZN4vllm33apply_repetition_penalties_kernelIN3c104HalfEEEvPT_PKbS6_PKS3_iii ; -- Begin function _ZN4vllm33apply_repetition_penalties_kernelIN3c104HalfEEEvPT_PKbS6_PKS3_iii
	.globl	_ZN4vllm33apply_repetition_penalties_kernelIN3c104HalfEEEvPT_PKbS6_PKS3_iii
	.p2align	8
	.type	_ZN4vllm33apply_repetition_penalties_kernelIN3c104HalfEEEvPT_PKbS6_PKS3_iii,@function
_ZN4vllm33apply_repetition_penalties_kernelIN3c104HalfEEEvPT_PKbS6_PKS3_iii: ; @_ZN4vllm33apply_repetition_penalties_kernelIN3c104HalfEEEvPT_PKbS6_PKS3_iii
; %bb.0:
	s_load_dwordx4 s[0:3], s[4:5], 0x20
	s_waitcnt lgkmcnt(0)
	s_cmp_ge_i32 s6, s0
	s_cbranch_scc1 .LBB1_12
; %bb.1:
	s_mul_i32 s0, s2, s7
	s_add_i32 s2, s0, s2
	s_min_i32 s16, s2, s1
	v_add_u32_e32 v2, s0, v0
	v_cmp_gt_i32_e32 vcc, s16, v2
	s_and_saveexec_b64 s[2:3], vcc
	s_cbranch_execz .LBB1_12
; %bb.2:
	s_load_dwordx8 s[8:15], s[4:5], 0x0
	s_ashr_i32 s7, s6, 31
	s_lshl_b64 s[2:3], s[6:7], 1
	v_mov_b32_e32 v0, 0
	s_load_dword s0, s[4:5], 0x3c
	s_waitcnt lgkmcnt(0)
	s_add_u32 s2, s14, s2
	s_addc_u32 s3, s15, s3
	global_load_ushort v3, v0, s[2:3]
	s_mul_hi_i32 s2, s1, s6
	s_mul_i32 s6, s1, s6
	s_and_b32 s7, s0, 0xffff
	s_mov_b64 s[0:1], 0
	v_mov_b32_e32 v6, s2
	v_mov_b32_e32 v7, s11
	s_waitcnt vmcnt(0)
	v_cvt_f32_f16_e32 v4, v3
	v_rcp_f32_e32 v5, v4
	s_branch .LBB1_5
.LBB1_3:                                ;   in Loop: Header=BB1_5 Depth=1
	s_or_b64 exec, exec, s[4:5]
	global_store_short v[0:1], v9, off
.LBB1_4:                                ;   in Loop: Header=BB1_5 Depth=1
	s_or_b64 exec, exec, s[2:3]
	v_add_u32_e32 v2, s7, v2
	v_cmp_le_i32_e32 vcc, s16, v2
	s_or_b64 s[0:1], vcc, s[0:1]
	s_andn2_b64 exec, exec, s[0:1]
	s_cbranch_execz .LBB1_12
.LBB1_5:                                ; =>This Inner Loop Header: Depth=1
	v_ashrrev_i32_e32 v1, 31, v2
	v_add_co_u32_e32 v0, vcc, s6, v2
	v_addc_co_u32_e32 v1, vcc, v6, v1, vcc
	v_add_co_u32_e32 v8, vcc, s10, v0
	v_addc_co_u32_e32 v9, vcc, v7, v1, vcc
	global_load_ubyte v8, v[8:9], off
	s_mov_b64 s[4:5], -1
	s_waitcnt vmcnt(0)
	v_and_b32_e32 v8, 1, v8
	v_cmp_eq_u32_e32 vcc, 1, v8
	s_xor_b64 s[14:15], vcc, -1
	s_and_saveexec_b64 s[2:3], s[14:15]
	s_cbranch_execz .LBB1_7
; %bb.6:                                ;   in Loop: Header=BB1_5 Depth=1
	v_mov_b32_e32 v9, s13
	v_add_co_u32_e32 v8, vcc, s12, v0
	v_addc_co_u32_e32 v9, vcc, v9, v1, vcc
	global_load_ubyte v8, v[8:9], off
	s_waitcnt vmcnt(0)
	v_and_b32_e32 v8, 1, v8
	v_cmp_eq_u32_e32 vcc, 1, v8
	s_orn2_b64 s[4:5], vcc, exec
.LBB1_7:                                ;   in Loop: Header=BB1_5 Depth=1
	s_or_b64 exec, exec, s[2:3]
	s_and_saveexec_b64 s[2:3], s[4:5]
	s_cbranch_execz .LBB1_4
; %bb.8:                                ;   in Loop: Header=BB1_5 Depth=1
	v_lshlrev_b64 v[0:1], 1, v[0:1]
	v_mov_b32_e32 v8, s9
	v_add_co_u32_e32 v0, vcc, s8, v0
	v_addc_co_u32_e32 v1, vcc, v8, v1, vcc
	global_load_ushort v8, v[0:1], off
                                        ; implicit-def: $vgpr9
	s_waitcnt vmcnt(0)
	v_cmp_nlt_f16_e32 vcc, 0, v8
	s_and_saveexec_b64 s[4:5], vcc
	s_xor_b64 s[4:5], exec, s[4:5]
; %bb.9:                                ;   in Loop: Header=BB1_5 Depth=1
	v_mul_f16_e32 v9, v8, v3
                                        ; implicit-def: $vgpr8
; %bb.10:                               ;   in Loop: Header=BB1_5 Depth=1
	s_andn2_saveexec_b64 s[4:5], s[4:5]
	s_cbranch_execz .LBB1_3
; %bb.11:                               ;   in Loop: Header=BB1_5 Depth=1
	v_cvt_f32_f16_e32 v9, v8
	v_mul_f32_e32 v10, v9, v5
	v_mad_f32 v11, -v4, v10, v9
	v_mac_f32_e32 v10, v11, v5
	v_mad_f32 v9, -v4, v10, v9
	v_mul_f32_e32 v9, v9, v5
	v_and_b32_e32 v9, 0xff800000, v9
	v_add_f32_e32 v9, v9, v10
	v_cvt_f16_f32_e32 v9, v9
	v_div_fixup_f16 v9, v9, v3, v8
	s_branch .LBB1_3
.LBB1_12:
	s_endpgm
	.section	.rodata,"a",@progbits
	.p2align	6, 0x0
	.amdhsa_kernel _ZN4vllm33apply_repetition_penalties_kernelIN3c104HalfEEEvPT_PKbS6_PKS3_iii
		.amdhsa_group_segment_fixed_size 0
		.amdhsa_private_segment_fixed_size 0
		.amdhsa_kernarg_size 304
		.amdhsa_user_sgpr_count 6
		.amdhsa_user_sgpr_private_segment_buffer 1
		.amdhsa_user_sgpr_dispatch_ptr 0
		.amdhsa_user_sgpr_queue_ptr 0
		.amdhsa_user_sgpr_kernarg_segment_ptr 1
		.amdhsa_user_sgpr_dispatch_id 0
		.amdhsa_user_sgpr_flat_scratch_init 0
		.amdhsa_user_sgpr_private_segment_size 0
		.amdhsa_uses_dynamic_stack 0
		.amdhsa_system_sgpr_private_segment_wavefront_offset 0
		.amdhsa_system_sgpr_workgroup_id_x 1
		.amdhsa_system_sgpr_workgroup_id_y 1
		.amdhsa_system_sgpr_workgroup_id_z 0
		.amdhsa_system_sgpr_workgroup_info 0
		.amdhsa_system_vgpr_workitem_id 0
		.amdhsa_next_free_vgpr 12
		.amdhsa_next_free_sgpr 17
		.amdhsa_reserve_vcc 1
		.amdhsa_reserve_flat_scratch 0
		.amdhsa_float_round_mode_32 0
		.amdhsa_float_round_mode_16_64 0
		.amdhsa_float_denorm_mode_32 3
		.amdhsa_float_denorm_mode_16_64 3
		.amdhsa_dx10_clamp 1
		.amdhsa_ieee_mode 1
		.amdhsa_fp16_overflow 0
		.amdhsa_exception_fp_ieee_invalid_op 0
		.amdhsa_exception_fp_denorm_src 0
		.amdhsa_exception_fp_ieee_div_zero 0
		.amdhsa_exception_fp_ieee_overflow 0
		.amdhsa_exception_fp_ieee_underflow 0
		.amdhsa_exception_fp_ieee_inexact 0
		.amdhsa_exception_int_div_zero 0
	.end_amdhsa_kernel
	.section	.text._ZN4vllm33apply_repetition_penalties_kernelIN3c104HalfEEEvPT_PKbS6_PKS3_iii,"axG",@progbits,_ZN4vllm33apply_repetition_penalties_kernelIN3c104HalfEEEvPT_PKbS6_PKS3_iii,comdat
.Lfunc_end1:
	.size	_ZN4vllm33apply_repetition_penalties_kernelIN3c104HalfEEEvPT_PKbS6_PKS3_iii, .Lfunc_end1-_ZN4vllm33apply_repetition_penalties_kernelIN3c104HalfEEEvPT_PKbS6_PKS3_iii
                                        ; -- End function
	.set _ZN4vllm33apply_repetition_penalties_kernelIN3c104HalfEEEvPT_PKbS6_PKS3_iii.num_vgpr, 12
	.set _ZN4vllm33apply_repetition_penalties_kernelIN3c104HalfEEEvPT_PKbS6_PKS3_iii.num_agpr, 0
	.set _ZN4vllm33apply_repetition_penalties_kernelIN3c104HalfEEEvPT_PKbS6_PKS3_iii.numbered_sgpr, 17
	.set _ZN4vllm33apply_repetition_penalties_kernelIN3c104HalfEEEvPT_PKbS6_PKS3_iii.num_named_barrier, 0
	.set _ZN4vllm33apply_repetition_penalties_kernelIN3c104HalfEEEvPT_PKbS6_PKS3_iii.private_seg_size, 0
	.set _ZN4vllm33apply_repetition_penalties_kernelIN3c104HalfEEEvPT_PKbS6_PKS3_iii.uses_vcc, 1
	.set _ZN4vllm33apply_repetition_penalties_kernelIN3c104HalfEEEvPT_PKbS6_PKS3_iii.uses_flat_scratch, 0
	.set _ZN4vllm33apply_repetition_penalties_kernelIN3c104HalfEEEvPT_PKbS6_PKS3_iii.has_dyn_sized_stack, 0
	.set _ZN4vllm33apply_repetition_penalties_kernelIN3c104HalfEEEvPT_PKbS6_PKS3_iii.has_recursion, 0
	.set _ZN4vllm33apply_repetition_penalties_kernelIN3c104HalfEEEvPT_PKbS6_PKS3_iii.has_indirect_call, 0
	.section	.AMDGPU.csdata,"",@progbits
; Kernel info:
; codeLenInByte = 400
; TotalNumSgprs: 21
; NumVgprs: 12
; ScratchSize: 0
; MemoryBound: 0
; FloatMode: 240
; IeeeMode: 1
; LDSByteSize: 0 bytes/workgroup (compile time only)
; SGPRBlocks: 2
; VGPRBlocks: 2
; NumSGPRsForWavesPerEU: 21
; NumVGPRsForWavesPerEU: 12
; Occupancy: 10
; WaveLimiterHint : 0
; COMPUTE_PGM_RSRC2:SCRATCH_EN: 0
; COMPUTE_PGM_RSRC2:USER_SGPR: 6
; COMPUTE_PGM_RSRC2:TRAP_HANDLER: 0
; COMPUTE_PGM_RSRC2:TGID_X_EN: 1
; COMPUTE_PGM_RSRC2:TGID_Y_EN: 1
; COMPUTE_PGM_RSRC2:TGID_Z_EN: 0
; COMPUTE_PGM_RSRC2:TIDIG_COMP_CNT: 0
	.section	.text._ZN4vllm33apply_repetition_penalties_kernelIN3c108BFloat16EEEvPT_PKbS6_PKS3_iii,"axG",@progbits,_ZN4vllm33apply_repetition_penalties_kernelIN3c108BFloat16EEEvPT_PKbS6_PKS3_iii,comdat
	.protected	_ZN4vllm33apply_repetition_penalties_kernelIN3c108BFloat16EEEvPT_PKbS6_PKS3_iii ; -- Begin function _ZN4vllm33apply_repetition_penalties_kernelIN3c108BFloat16EEEvPT_PKbS6_PKS3_iii
	.globl	_ZN4vllm33apply_repetition_penalties_kernelIN3c108BFloat16EEEvPT_PKbS6_PKS3_iii
	.p2align	8
	.type	_ZN4vllm33apply_repetition_penalties_kernelIN3c108BFloat16EEEvPT_PKbS6_PKS3_iii,@function
_ZN4vllm33apply_repetition_penalties_kernelIN3c108BFloat16EEEvPT_PKbS6_PKS3_iii: ; @_ZN4vllm33apply_repetition_penalties_kernelIN3c108BFloat16EEEvPT_PKbS6_PKS3_iii
; %bb.0:
	s_load_dwordx4 s[0:3], s[4:5], 0x20
	s_waitcnt lgkmcnt(0)
	s_cmp_ge_i32 s6, s0
	s_cbranch_scc1 .LBB2_12
; %bb.1:
	s_mul_i32 s0, s2, s7
	s_add_i32 s2, s0, s2
	s_min_i32 s16, s2, s1
	v_add_u32_e32 v2, s0, v0
	v_cmp_gt_i32_e32 vcc, s16, v2
	s_and_saveexec_b64 s[2:3], vcc
	s_cbranch_execz .LBB2_12
; %bb.2:
	s_load_dwordx8 s[8:15], s[4:5], 0x0
	s_ashr_i32 s7, s6, 31
	s_lshl_b64 s[2:3], s[6:7], 1
	v_mov_b32_e32 v0, 0
	s_movk_i32 s7, 0x7fff
	s_waitcnt lgkmcnt(0)
	s_add_u32 s2, s14, s2
	s_addc_u32 s3, s15, s3
	global_load_ushort v0, v0, s[2:3]
	s_load_dword s3, s[4:5], 0x3c
	s_mul_hi_i32 s2, s1, s6
	s_mul_i32 s6, s1, s6
	s_mov_b64 s[0:1], 0
	v_mov_b32_e32 v3, s2
	v_mov_b32_e32 v4, s11
	s_waitcnt lgkmcnt(0)
	s_and_b32 s11, s3, 0xffff
	v_mov_b32_e32 v6, 0x7fc0
	s_waitcnt vmcnt(0)
	v_lshlrev_b32_e32 v5, 16, v0
	s_branch .LBB2_5
.LBB2_3:                                ;   in Loop: Header=BB2_5 Depth=1
	s_or_b64 exec, exec, s[4:5]
	v_bfe_u32 v7, v8, 16, 1
	v_add3_u32 v7, v8, v7, s7
	v_cmp_o_f32_e32 vcc, v8, v8
	v_cndmask_b32_sdwa v7, v6, v7, vcc dst_sel:DWORD dst_unused:UNUSED_PAD src0_sel:DWORD src1_sel:WORD_1
	global_store_short v[0:1], v7, off
.LBB2_4:                                ;   in Loop: Header=BB2_5 Depth=1
	s_or_b64 exec, exec, s[2:3]
	v_add_u32_e32 v2, s11, v2
	v_cmp_le_i32_e32 vcc, s16, v2
	s_or_b64 s[0:1], vcc, s[0:1]
	s_andn2_b64 exec, exec, s[0:1]
	s_cbranch_execz .LBB2_12
.LBB2_5:                                ; =>This Inner Loop Header: Depth=1
	v_ashrrev_i32_e32 v1, 31, v2
	v_add_co_u32_e32 v0, vcc, s6, v2
	v_addc_co_u32_e32 v1, vcc, v3, v1, vcc
	v_add_co_u32_e32 v7, vcc, s10, v0
	v_addc_co_u32_e32 v8, vcc, v4, v1, vcc
	global_load_ubyte v7, v[7:8], off
	s_mov_b64 s[4:5], -1
	s_waitcnt vmcnt(0)
	v_and_b32_e32 v7, 1, v7
	v_cmp_eq_u32_e32 vcc, 1, v7
	s_xor_b64 s[14:15], vcc, -1
	s_and_saveexec_b64 s[2:3], s[14:15]
	s_cbranch_execz .LBB2_7
; %bb.6:                                ;   in Loop: Header=BB2_5 Depth=1
	v_mov_b32_e32 v8, s13
	v_add_co_u32_e32 v7, vcc, s12, v0
	v_addc_co_u32_e32 v8, vcc, v8, v1, vcc
	global_load_ubyte v7, v[7:8], off
	s_waitcnt vmcnt(0)
	v_and_b32_e32 v7, 1, v7
	v_cmp_eq_u32_e32 vcc, 1, v7
	s_orn2_b64 s[4:5], vcc, exec
.LBB2_7:                                ;   in Loop: Header=BB2_5 Depth=1
	s_or_b64 exec, exec, s[2:3]
	s_and_saveexec_b64 s[2:3], s[4:5]
	s_cbranch_execz .LBB2_4
; %bb.8:                                ;   in Loop: Header=BB2_5 Depth=1
	v_lshlrev_b64 v[0:1], 1, v[0:1]
	v_mov_b32_e32 v7, s9
	v_add_co_u32_e32 v0, vcc, s8, v0
	v_addc_co_u32_e32 v1, vcc, v7, v1, vcc
	global_load_ushort v7, v[0:1], off
                                        ; implicit-def: $vgpr8
	s_waitcnt vmcnt(0)
	v_lshlrev_b32_e32 v7, 16, v7
	v_cmp_nlt_f32_e32 vcc, 0, v7
	s_and_saveexec_b64 s[4:5], vcc
	s_xor_b64 s[4:5], exec, s[4:5]
; %bb.9:                                ;   in Loop: Header=BB2_5 Depth=1
	v_mul_f32_e32 v8, v5, v7
                                        ; implicit-def: $vgpr7
; %bb.10:                               ;   in Loop: Header=BB2_5 Depth=1
	s_andn2_saveexec_b64 s[4:5], s[4:5]
	s_cbranch_execz .LBB2_3
; %bb.11:                               ;   in Loop: Header=BB2_5 Depth=1
	v_div_scale_f32 v8, s[14:15], v5, v5, v7
	v_div_scale_f32 v9, vcc, v7, v5, v7
	v_rcp_f32_e32 v10, v8
	v_fma_f32 v11, -v8, v10, 1.0
	v_fmac_f32_e32 v10, v11, v10
	v_mul_f32_e32 v11, v9, v10
	v_fma_f32 v12, -v8, v11, v9
	v_fmac_f32_e32 v11, v12, v10
	v_fma_f32 v8, -v8, v11, v9
	v_div_fmas_f32 v8, v8, v10, v11
	v_div_fixup_f32 v8, v8, v5, v7
	s_branch .LBB2_3
.LBB2_12:
	s_endpgm
	.section	.rodata,"a",@progbits
	.p2align	6, 0x0
	.amdhsa_kernel _ZN4vllm33apply_repetition_penalties_kernelIN3c108BFloat16EEEvPT_PKbS6_PKS3_iii
		.amdhsa_group_segment_fixed_size 0
		.amdhsa_private_segment_fixed_size 0
		.amdhsa_kernarg_size 304
		.amdhsa_user_sgpr_count 6
		.amdhsa_user_sgpr_private_segment_buffer 1
		.amdhsa_user_sgpr_dispatch_ptr 0
		.amdhsa_user_sgpr_queue_ptr 0
		.amdhsa_user_sgpr_kernarg_segment_ptr 1
		.amdhsa_user_sgpr_dispatch_id 0
		.amdhsa_user_sgpr_flat_scratch_init 0
		.amdhsa_user_sgpr_private_segment_size 0
		.amdhsa_uses_dynamic_stack 0
		.amdhsa_system_sgpr_private_segment_wavefront_offset 0
		.amdhsa_system_sgpr_workgroup_id_x 1
		.amdhsa_system_sgpr_workgroup_id_y 1
		.amdhsa_system_sgpr_workgroup_id_z 0
		.amdhsa_system_sgpr_workgroup_info 0
		.amdhsa_system_vgpr_workitem_id 0
		.amdhsa_next_free_vgpr 13
		.amdhsa_next_free_sgpr 17
		.amdhsa_reserve_vcc 1
		.amdhsa_reserve_flat_scratch 0
		.amdhsa_float_round_mode_32 0
		.amdhsa_float_round_mode_16_64 0
		.amdhsa_float_denorm_mode_32 3
		.amdhsa_float_denorm_mode_16_64 3
		.amdhsa_dx10_clamp 1
		.amdhsa_ieee_mode 1
		.amdhsa_fp16_overflow 0
		.amdhsa_exception_fp_ieee_invalid_op 0
		.amdhsa_exception_fp_denorm_src 0
		.amdhsa_exception_fp_ieee_div_zero 0
		.amdhsa_exception_fp_ieee_overflow 0
		.amdhsa_exception_fp_ieee_underflow 0
		.amdhsa_exception_fp_ieee_inexact 0
		.amdhsa_exception_int_div_zero 0
	.end_amdhsa_kernel
	.section	.text._ZN4vllm33apply_repetition_penalties_kernelIN3c108BFloat16EEEvPT_PKbS6_PKS3_iii,"axG",@progbits,_ZN4vllm33apply_repetition_penalties_kernelIN3c108BFloat16EEEvPT_PKbS6_PKS3_iii,comdat
.Lfunc_end2:
	.size	_ZN4vllm33apply_repetition_penalties_kernelIN3c108BFloat16EEEvPT_PKbS6_PKS3_iii, .Lfunc_end2-_ZN4vllm33apply_repetition_penalties_kernelIN3c108BFloat16EEEvPT_PKbS6_PKS3_iii
                                        ; -- End function
	.set _ZN4vllm33apply_repetition_penalties_kernelIN3c108BFloat16EEEvPT_PKbS6_PKS3_iii.num_vgpr, 13
	.set _ZN4vllm33apply_repetition_penalties_kernelIN3c108BFloat16EEEvPT_PKbS6_PKS3_iii.num_agpr, 0
	.set _ZN4vllm33apply_repetition_penalties_kernelIN3c108BFloat16EEEvPT_PKbS6_PKS3_iii.numbered_sgpr, 17
	.set _ZN4vllm33apply_repetition_penalties_kernelIN3c108BFloat16EEEvPT_PKbS6_PKS3_iii.num_named_barrier, 0
	.set _ZN4vllm33apply_repetition_penalties_kernelIN3c108BFloat16EEEvPT_PKbS6_PKS3_iii.private_seg_size, 0
	.set _ZN4vllm33apply_repetition_penalties_kernelIN3c108BFloat16EEEvPT_PKbS6_PKS3_iii.uses_vcc, 1
	.set _ZN4vllm33apply_repetition_penalties_kernelIN3c108BFloat16EEEvPT_PKbS6_PKS3_iii.uses_flat_scratch, 0
	.set _ZN4vllm33apply_repetition_penalties_kernelIN3c108BFloat16EEEvPT_PKbS6_PKS3_iii.has_dyn_sized_stack, 0
	.set _ZN4vllm33apply_repetition_penalties_kernelIN3c108BFloat16EEEvPT_PKbS6_PKS3_iii.has_recursion, 0
	.set _ZN4vllm33apply_repetition_penalties_kernelIN3c108BFloat16EEEvPT_PKbS6_PKS3_iii.has_indirect_call, 0
	.section	.AMDGPU.csdata,"",@progbits
; Kernel info:
; codeLenInByte = 460
; TotalNumSgprs: 21
; NumVgprs: 13
; ScratchSize: 0
; MemoryBound: 0
; FloatMode: 240
; IeeeMode: 1
; LDSByteSize: 0 bytes/workgroup (compile time only)
; SGPRBlocks: 2
; VGPRBlocks: 3
; NumSGPRsForWavesPerEU: 21
; NumVGPRsForWavesPerEU: 13
; Occupancy: 10
; WaveLimiterHint : 0
; COMPUTE_PGM_RSRC2:SCRATCH_EN: 0
; COMPUTE_PGM_RSRC2:USER_SGPR: 6
; COMPUTE_PGM_RSRC2:TRAP_HANDLER: 0
; COMPUTE_PGM_RSRC2:TGID_X_EN: 1
; COMPUTE_PGM_RSRC2:TGID_Y_EN: 1
; COMPUTE_PGM_RSRC2:TGID_Z_EN: 0
; COMPUTE_PGM_RSRC2:TIDIG_COMP_CNT: 0
	.section	.AMDGPU.gpr_maximums,"",@progbits
	.set amdgpu.max_num_vgpr, 0
	.set amdgpu.max_num_agpr, 0
	.set amdgpu.max_num_sgpr, 0
	.section	.AMDGPU.csdata,"",@progbits
	.type	__hip_cuid_55d003b152f1950a,@object ; @__hip_cuid_55d003b152f1950a
	.section	.bss,"aw",@nobits
	.globl	__hip_cuid_55d003b152f1950a
__hip_cuid_55d003b152f1950a:
	.byte	0                               ; 0x0
	.size	__hip_cuid_55d003b152f1950a, 1

	.ident	"AMD clang version 22.0.0git (https://github.com/RadeonOpenCompute/llvm-project roc-7.2.4 26084 f58b06dce1f9c15707c5f808fd002e18c2accf7e)"
	.section	".note.GNU-stack","",@progbits
	.addrsig
	.addrsig_sym __hip_cuid_55d003b152f1950a
	.amdgpu_metadata
---
amdhsa.kernels:
  - .args:
      - .address_space:  global
        .offset:         0
        .size:           8
        .value_kind:     global_buffer
      - .actual_access:  read_only
        .address_space:  global
        .offset:         8
        .size:           8
        .value_kind:     global_buffer
      - .actual_access:  read_only
        .address_space:  global
        .offset:         16
        .size:           8
        .value_kind:     global_buffer
      - .actual_access:  read_only
        .address_space:  global
        .offset:         24
        .size:           8
        .value_kind:     global_buffer
      - .offset:         32
        .size:           4
        .value_kind:     by_value
      - .offset:         36
        .size:           4
        .value_kind:     by_value
      - .offset:         40
        .size:           4
        .value_kind:     by_value
      - .offset:         48
        .size:           4
        .value_kind:     hidden_block_count_x
      - .offset:         52
        .size:           4
        .value_kind:     hidden_block_count_y
      - .offset:         56
        .size:           4
        .value_kind:     hidden_block_count_z
      - .offset:         60
        .size:           2
        .value_kind:     hidden_group_size_x
      - .offset:         62
        .size:           2
        .value_kind:     hidden_group_size_y
      - .offset:         64
        .size:           2
        .value_kind:     hidden_group_size_z
      - .offset:         66
        .size:           2
        .value_kind:     hidden_remainder_x
      - .offset:         68
        .size:           2
        .value_kind:     hidden_remainder_y
      - .offset:         70
        .size:           2
        .value_kind:     hidden_remainder_z
      - .offset:         88
        .size:           8
        .value_kind:     hidden_global_offset_x
      - .offset:         96
        .size:           8
        .value_kind:     hidden_global_offset_y
      - .offset:         104
        .size:           8
        .value_kind:     hidden_global_offset_z
      - .offset:         112
        .size:           2
        .value_kind:     hidden_grid_dims
    .group_segment_fixed_size: 0
    .kernarg_segment_align: 8
    .kernarg_segment_size: 304
    .language:       OpenCL C
    .language_version:
      - 2
      - 0
    .max_flat_workgroup_size: 1024
    .name:           _ZN4vllm33apply_repetition_penalties_kernelIfEEvPT_PKbS4_PKS1_iii
    .private_segment_fixed_size: 0
    .sgpr_count:     24
    .sgpr_spill_count: 0
    .symbol:         _ZN4vllm33apply_repetition_penalties_kernelIfEEvPT_PKbS4_PKS1_iii.kd
    .uniform_work_group_size: 1
    .uses_dynamic_stack: false
    .vgpr_count:     11
    .vgpr_spill_count: 0
    .wavefront_size: 64
  - .args:
      - .address_space:  global
        .offset:         0
        .size:           8
        .value_kind:     global_buffer
      - .actual_access:  read_only
        .address_space:  global
        .offset:         8
        .size:           8
        .value_kind:     global_buffer
      - .actual_access:  read_only
        .address_space:  global
        .offset:         16
        .size:           8
        .value_kind:     global_buffer
      - .actual_access:  read_only
        .address_space:  global
        .offset:         24
        .size:           8
        .value_kind:     global_buffer
      - .offset:         32
        .size:           4
        .value_kind:     by_value
      - .offset:         36
        .size:           4
        .value_kind:     by_value
      - .offset:         40
        .size:           4
        .value_kind:     by_value
      - .offset:         48
        .size:           4
        .value_kind:     hidden_block_count_x
      - .offset:         52
        .size:           4
        .value_kind:     hidden_block_count_y
      - .offset:         56
        .size:           4
        .value_kind:     hidden_block_count_z
      - .offset:         60
        .size:           2
        .value_kind:     hidden_group_size_x
      - .offset:         62
        .size:           2
        .value_kind:     hidden_group_size_y
      - .offset:         64
        .size:           2
        .value_kind:     hidden_group_size_z
      - .offset:         66
        .size:           2
        .value_kind:     hidden_remainder_x
      - .offset:         68
        .size:           2
        .value_kind:     hidden_remainder_y
      - .offset:         70
        .size:           2
        .value_kind:     hidden_remainder_z
      - .offset:         88
        .size:           8
        .value_kind:     hidden_global_offset_x
      - .offset:         96
        .size:           8
        .value_kind:     hidden_global_offset_y
      - .offset:         104
        .size:           8
        .value_kind:     hidden_global_offset_z
      - .offset:         112
        .size:           2
        .value_kind:     hidden_grid_dims
    .group_segment_fixed_size: 0
    .kernarg_segment_align: 8
    .kernarg_segment_size: 304
    .language:       OpenCL C
    .language_version:
      - 2
      - 0
    .max_flat_workgroup_size: 1024
    .name:           _ZN4vllm33apply_repetition_penalties_kernelIN3c104HalfEEEvPT_PKbS6_PKS3_iii
    .private_segment_fixed_size: 0
    .sgpr_count:     21
    .sgpr_spill_count: 0
    .symbol:         _ZN4vllm33apply_repetition_penalties_kernelIN3c104HalfEEEvPT_PKbS6_PKS3_iii.kd
    .uniform_work_group_size: 1
    .uses_dynamic_stack: false
    .vgpr_count:     12
    .vgpr_spill_count: 0
    .wavefront_size: 64
  - .args:
      - .address_space:  global
        .offset:         0
        .size:           8
        .value_kind:     global_buffer
      - .actual_access:  read_only
        .address_space:  global
        .offset:         8
        .size:           8
        .value_kind:     global_buffer
      - .actual_access:  read_only
        .address_space:  global
        .offset:         16
        .size:           8
        .value_kind:     global_buffer
      - .actual_access:  read_only
        .address_space:  global
        .offset:         24
        .size:           8
        .value_kind:     global_buffer
      - .offset:         32
        .size:           4
        .value_kind:     by_value
      - .offset:         36
        .size:           4
        .value_kind:     by_value
      - .offset:         40
        .size:           4
        .value_kind:     by_value
      - .offset:         48
        .size:           4
        .value_kind:     hidden_block_count_x
      - .offset:         52
        .size:           4
        .value_kind:     hidden_block_count_y
      - .offset:         56
        .size:           4
        .value_kind:     hidden_block_count_z
      - .offset:         60
        .size:           2
        .value_kind:     hidden_group_size_x
      - .offset:         62
        .size:           2
        .value_kind:     hidden_group_size_y
      - .offset:         64
        .size:           2
        .value_kind:     hidden_group_size_z
      - .offset:         66
        .size:           2
        .value_kind:     hidden_remainder_x
      - .offset:         68
        .size:           2
        .value_kind:     hidden_remainder_y
      - .offset:         70
        .size:           2
        .value_kind:     hidden_remainder_z
      - .offset:         88
        .size:           8
        .value_kind:     hidden_global_offset_x
      - .offset:         96
        .size:           8
        .value_kind:     hidden_global_offset_y
      - .offset:         104
        .size:           8
        .value_kind:     hidden_global_offset_z
      - .offset:         112
        .size:           2
        .value_kind:     hidden_grid_dims
    .group_segment_fixed_size: 0
    .kernarg_segment_align: 8
    .kernarg_segment_size: 304
    .language:       OpenCL C
    .language_version:
      - 2
      - 0
    .max_flat_workgroup_size: 1024
    .name:           _ZN4vllm33apply_repetition_penalties_kernelIN3c108BFloat16EEEvPT_PKbS6_PKS3_iii
    .private_segment_fixed_size: 0
    .sgpr_count:     21
    .sgpr_spill_count: 0
    .symbol:         _ZN4vllm33apply_repetition_penalties_kernelIN3c108BFloat16EEEvPT_PKbS6_PKS3_iii.kd
    .uniform_work_group_size: 1
    .uses_dynamic_stack: false
    .vgpr_count:     13
    .vgpr_spill_count: 0
    .wavefront_size: 64
amdhsa.target:   amdgcn-amd-amdhsa--gfx906
amdhsa.version:
  - 1
  - 2
...

	.end_amdgpu_metadata
